;; amdgpu-corpus repo=ROCm/rocFFT kind=compiled arch=gfx906 opt=O3
	.text
	.amdgcn_target "amdgcn-amd-amdhsa--gfx906"
	.amdhsa_code_object_version 6
	.protected	fft_rtc_back_len650_factors_10_5_13_wgs_195_tpt_65_dp_op_CI_CI_unitstride_sbrr_C2R_dirReg ; -- Begin function fft_rtc_back_len650_factors_10_5_13_wgs_195_tpt_65_dp_op_CI_CI_unitstride_sbrr_C2R_dirReg
	.globl	fft_rtc_back_len650_factors_10_5_13_wgs_195_tpt_65_dp_op_CI_CI_unitstride_sbrr_C2R_dirReg
	.p2align	8
	.type	fft_rtc_back_len650_factors_10_5_13_wgs_195_tpt_65_dp_op_CI_CI_unitstride_sbrr_C2R_dirReg,@function
fft_rtc_back_len650_factors_10_5_13_wgs_195_tpt_65_dp_op_CI_CI_unitstride_sbrr_C2R_dirReg: ; @fft_rtc_back_len650_factors_10_5_13_wgs_195_tpt_65_dp_op_CI_CI_unitstride_sbrr_C2R_dirReg
; %bb.0:
	s_load_dwordx4 s[8:11], s[4:5], 0x58
	s_load_dwordx4 s[12:15], s[4:5], 0x0
	;; [unrolled: 1-line block ×3, first 2 shown]
	v_mul_u32_u24_e32 v1, 0x3f1, v0
	v_lshrrev_b32_e32 v1, 16, v1
	v_mad_u64_u32 v[3:4], s[0:1], s6, 3, v[1:2]
	v_mov_b32_e32 v5, 0
	v_mov_b32_e32 v1, 0
	;; [unrolled: 1-line block ×3, first 2 shown]
	s_waitcnt lgkmcnt(0)
	v_cmp_lt_u64_e64 s[0:1], s[14:15], 2
	v_mov_b32_e32 v2, 0
	v_mov_b32_e32 v53, v2
	;; [unrolled: 1-line block ×3, first 2 shown]
	s_and_b64 vcc, exec, s[0:1]
	v_mov_b32_e32 v52, v1
	v_mov_b32_e32 v54, v3
	s_cbranch_vccnz .LBB0_8
; %bb.1:
	s_load_dwordx2 s[0:1], s[4:5], 0x10
	s_add_u32 s2, s18, 8
	s_addc_u32 s3, s19, 0
	s_add_u32 s6, s16, 8
	v_mov_b32_e32 v1, 0
	s_addc_u32 s7, s17, 0
	v_mov_b32_e32 v2, 0
	s_waitcnt lgkmcnt(0)
	s_add_u32 s20, s0, 8
	v_mov_b32_e32 v53, v2
	v_mov_b32_e32 v8, v4
	s_addc_u32 s21, s1, 0
	s_mov_b64 s[22:23], 1
	v_mov_b32_e32 v52, v1
	v_mov_b32_e32 v7, v3
.LBB0_2:                                ; =>This Inner Loop Header: Depth=1
	s_load_dwordx2 s[24:25], s[20:21], 0x0
                                        ; implicit-def: $vgpr54_vgpr55
	s_waitcnt lgkmcnt(0)
	v_or_b32_e32 v6, s25, v8
	v_cmp_ne_u64_e32 vcc, 0, v[5:6]
	s_and_saveexec_b64 s[0:1], vcc
	s_xor_b64 s[26:27], exec, s[0:1]
	s_cbranch_execz .LBB0_4
; %bb.3:                                ;   in Loop: Header=BB0_2 Depth=1
	v_cvt_f32_u32_e32 v4, s24
	v_cvt_f32_u32_e32 v6, s25
	s_sub_u32 s0, 0, s24
	s_subb_u32 s1, 0, s25
	v_mac_f32_e32 v4, 0x4f800000, v6
	v_rcp_f32_e32 v4, v4
	v_mul_f32_e32 v4, 0x5f7ffffc, v4
	v_mul_f32_e32 v6, 0x2f800000, v4
	v_trunc_f32_e32 v6, v6
	v_mac_f32_e32 v4, 0xcf800000, v6
	v_cvt_u32_f32_e32 v6, v6
	v_cvt_u32_f32_e32 v4, v4
	v_mul_lo_u32 v9, s0, v6
	v_mul_hi_u32 v10, s0, v4
	v_mul_lo_u32 v12, s1, v4
	v_mul_lo_u32 v11, s0, v4
	v_add_u32_e32 v9, v10, v9
	v_add_u32_e32 v9, v9, v12
	v_mul_hi_u32 v10, v4, v11
	v_mul_lo_u32 v12, v4, v9
	v_mul_hi_u32 v14, v4, v9
	v_mul_hi_u32 v13, v6, v11
	v_mul_lo_u32 v11, v6, v11
	v_mul_hi_u32 v15, v6, v9
	v_add_co_u32_e32 v10, vcc, v10, v12
	v_addc_co_u32_e32 v12, vcc, 0, v14, vcc
	v_mul_lo_u32 v9, v6, v9
	v_add_co_u32_e32 v10, vcc, v10, v11
	v_addc_co_u32_e32 v10, vcc, v12, v13, vcc
	v_addc_co_u32_e32 v11, vcc, 0, v15, vcc
	v_add_co_u32_e32 v9, vcc, v10, v9
	v_addc_co_u32_e32 v10, vcc, 0, v11, vcc
	v_add_co_u32_e32 v4, vcc, v4, v9
	v_addc_co_u32_e32 v6, vcc, v6, v10, vcc
	v_mul_lo_u32 v9, s0, v6
	v_mul_hi_u32 v10, s0, v4
	v_mul_lo_u32 v11, s1, v4
	v_mul_lo_u32 v12, s0, v4
	v_add_u32_e32 v9, v10, v9
	v_add_u32_e32 v9, v9, v11
	v_mul_lo_u32 v13, v4, v9
	v_mul_hi_u32 v14, v4, v12
	v_mul_hi_u32 v15, v4, v9
	;; [unrolled: 1-line block ×3, first 2 shown]
	v_mul_lo_u32 v12, v6, v12
	v_mul_hi_u32 v10, v6, v9
	v_add_co_u32_e32 v13, vcc, v14, v13
	v_addc_co_u32_e32 v14, vcc, 0, v15, vcc
	v_mul_lo_u32 v9, v6, v9
	v_add_co_u32_e32 v12, vcc, v13, v12
	v_addc_co_u32_e32 v11, vcc, v14, v11, vcc
	v_addc_co_u32_e32 v10, vcc, 0, v10, vcc
	v_add_co_u32_e32 v9, vcc, v11, v9
	v_addc_co_u32_e32 v10, vcc, 0, v10, vcc
	v_add_co_u32_e32 v4, vcc, v4, v9
	v_addc_co_u32_e32 v6, vcc, v6, v10, vcc
	v_mad_u64_u32 v[9:10], s[0:1], v7, v6, 0
	v_mul_hi_u32 v11, v7, v4
	v_add_co_u32_e32 v13, vcc, v11, v9
	v_addc_co_u32_e32 v14, vcc, 0, v10, vcc
	v_mad_u64_u32 v[9:10], s[0:1], v8, v4, 0
	v_mad_u64_u32 v[11:12], s[0:1], v8, v6, 0
	v_add_co_u32_e32 v4, vcc, v13, v9
	v_addc_co_u32_e32 v4, vcc, v14, v10, vcc
	v_addc_co_u32_e32 v6, vcc, 0, v12, vcc
	v_add_co_u32_e32 v4, vcc, v4, v11
	v_addc_co_u32_e32 v6, vcc, 0, v6, vcc
	v_mul_lo_u32 v11, s25, v4
	v_mul_lo_u32 v12, s24, v6
	v_mad_u64_u32 v[9:10], s[0:1], s24, v4, 0
	v_add3_u32 v10, v10, v12, v11
	v_sub_u32_e32 v11, v8, v10
	v_mov_b32_e32 v12, s25
	v_sub_co_u32_e32 v9, vcc, v7, v9
	v_subb_co_u32_e64 v11, s[0:1], v11, v12, vcc
	v_subrev_co_u32_e64 v12, s[0:1], s24, v9
	v_subbrev_co_u32_e64 v11, s[0:1], 0, v11, s[0:1]
	v_cmp_le_u32_e64 s[0:1], s25, v11
	v_cndmask_b32_e64 v13, 0, -1, s[0:1]
	v_cmp_le_u32_e64 s[0:1], s24, v12
	v_cndmask_b32_e64 v12, 0, -1, s[0:1]
	v_cmp_eq_u32_e64 s[0:1], s25, v11
	v_cndmask_b32_e64 v11, v13, v12, s[0:1]
	v_add_co_u32_e64 v12, s[0:1], 2, v4
	v_addc_co_u32_e64 v13, s[0:1], 0, v6, s[0:1]
	v_add_co_u32_e64 v14, s[0:1], 1, v4
	v_addc_co_u32_e64 v15, s[0:1], 0, v6, s[0:1]
	v_subb_co_u32_e32 v10, vcc, v8, v10, vcc
	v_cmp_ne_u32_e64 s[0:1], 0, v11
	v_cmp_le_u32_e32 vcc, s25, v10
	v_cndmask_b32_e64 v11, v15, v13, s[0:1]
	v_cndmask_b32_e64 v13, 0, -1, vcc
	v_cmp_le_u32_e32 vcc, s24, v9
	v_cndmask_b32_e64 v9, 0, -1, vcc
	v_cmp_eq_u32_e32 vcc, s25, v10
	v_cndmask_b32_e32 v9, v13, v9, vcc
	v_cmp_ne_u32_e32 vcc, 0, v9
	v_cndmask_b32_e32 v55, v6, v11, vcc
	v_cndmask_b32_e64 v6, v14, v12, s[0:1]
	v_cndmask_b32_e32 v54, v4, v6, vcc
.LBB0_4:                                ;   in Loop: Header=BB0_2 Depth=1
	s_andn2_saveexec_b64 s[0:1], s[26:27]
	s_cbranch_execz .LBB0_6
; %bb.5:                                ;   in Loop: Header=BB0_2 Depth=1
	v_cvt_f32_u32_e32 v4, s24
	s_sub_i32 s26, 0, s24
	v_mov_b32_e32 v55, v5
	v_rcp_iflag_f32_e32 v4, v4
	v_mul_f32_e32 v4, 0x4f7ffffe, v4
	v_cvt_u32_f32_e32 v4, v4
	v_mul_lo_u32 v6, s26, v4
	v_mul_hi_u32 v6, v4, v6
	v_add_u32_e32 v4, v4, v6
	v_mul_hi_u32 v4, v7, v4
	v_mul_lo_u32 v6, v4, s24
	v_add_u32_e32 v9, 1, v4
	v_sub_u32_e32 v6, v7, v6
	v_subrev_u32_e32 v10, s24, v6
	v_cmp_le_u32_e32 vcc, s24, v6
	v_cndmask_b32_e32 v6, v6, v10, vcc
	v_cndmask_b32_e32 v4, v4, v9, vcc
	v_add_u32_e32 v9, 1, v4
	v_cmp_le_u32_e32 vcc, s24, v6
	v_cndmask_b32_e32 v54, v4, v9, vcc
.LBB0_6:                                ;   in Loop: Header=BB0_2 Depth=1
	s_or_b64 exec, exec, s[0:1]
	v_mul_lo_u32 v4, v55, s24
	v_mul_lo_u32 v6, v54, s25
	v_mad_u64_u32 v[9:10], s[0:1], v54, s24, 0
	s_load_dwordx2 s[0:1], s[6:7], 0x0
	s_load_dwordx2 s[24:25], s[2:3], 0x0
	v_add3_u32 v4, v10, v6, v4
	v_sub_co_u32_e32 v6, vcc, v7, v9
	v_subb_co_u32_e32 v4, vcc, v8, v4, vcc
	s_waitcnt lgkmcnt(0)
	v_mul_lo_u32 v7, s0, v4
	v_mul_lo_u32 v8, s1, v6
	v_mad_u64_u32 v[1:2], s[0:1], s0, v6, v[1:2]
	s_add_u32 s22, s22, 1
	s_addc_u32 s23, s23, 0
	s_add_u32 s2, s2, 8
	v_mul_lo_u32 v4, s24, v4
	v_mul_lo_u32 v9, s25, v6
	v_mad_u64_u32 v[52:53], s[0:1], s24, v6, v[52:53]
	v_add3_u32 v2, v8, v2, v7
	s_addc_u32 s3, s3, 0
	v_mov_b32_e32 v6, s14
	s_add_u32 s6, s6, 8
	v_mov_b32_e32 v7, s15
	s_addc_u32 s7, s7, 0
	v_cmp_ge_u64_e32 vcc, s[22:23], v[6:7]
	s_add_u32 s20, s20, 8
	v_add3_u32 v53, v9, v53, v4
	s_addc_u32 s21, s21, 0
	s_cbranch_vccnz .LBB0_8
; %bb.7:                                ;   in Loop: Header=BB0_2 Depth=1
	v_mov_b32_e32 v7, v54
	v_mov_b32_e32 v8, v55
	s_branch .LBB0_2
.LBB0_8:
	s_mov_b32 s0, 0xaaaaaaab
	s_load_dwordx2 s[4:5], s[4:5], 0x28
	v_mul_hi_u32 v4, v3, s0
	s_lshl_b64 s[6:7], s[14:15], 3
	s_add_u32 s2, s18, s6
	s_addc_u32 s3, s19, s7
	v_lshrrev_b32_e32 v4, 1, v4
	v_lshl_add_u32 v4, v4, 1, v4
	s_waitcnt lgkmcnt(0)
	v_cmp_gt_u64_e64 s[0:1], s[4:5], v[54:55]
	v_cmp_le_u64_e32 vcc, s[4:5], v[54:55]
	v_sub_u32_e32 v3, v3, v4
                                        ; implicit-def: $vgpr56
	s_and_saveexec_b64 s[4:5], vcc
	s_xor_b64 s[4:5], exec, s[4:5]
; %bb.9:
	s_mov_b32 s14, 0x3f03f04
	v_mul_hi_u32 v1, v0, s14
	v_mul_u32_u24_e32 v1, 0x41, v1
	v_sub_u32_e32 v56, v0, v1
                                        ; implicit-def: $vgpr0
                                        ; implicit-def: $vgpr1_vgpr2
; %bb.10:
	s_or_saveexec_b64 s[4:5], s[4:5]
	s_load_dwordx2 s[2:3], s[2:3], 0x0
	v_mul_u32_u24_e32 v3, 0x28b, v3
	v_lshlrev_b32_e32 v40, 4, v3
	s_xor_b64 exec, exec, s[4:5]
	s_cbranch_execz .LBB0_14
; %bb.11:
	s_add_u32 s6, s16, s6
	s_addc_u32 s7, s17, s7
	s_load_dwordx2 s[6:7], s[6:7], 0x0
	s_mov_b32 s14, 0x3f03f04
	v_mul_hi_u32 v6, v0, s14
	v_lshlrev_b64 v[1:2], 4, v[1:2]
	s_waitcnt lgkmcnt(0)
	v_mul_lo_u32 v7, s7, v54
	v_mul_lo_u32 v8, s6, v55
	v_mad_u64_u32 v[4:5], s[6:7], s6, v54, 0
	v_mul_u32_u24_e32 v6, 0x41, v6
	v_sub_u32_e32 v56, v0, v6
	v_add3_u32 v5, v5, v8, v7
	v_lshlrev_b64 v[4:5], 4, v[4:5]
	v_mov_b32_e32 v0, s9
	v_add_co_u32_e32 v4, vcc, s8, v4
	v_addc_co_u32_e32 v0, vcc, v0, v5, vcc
	v_add_co_u32_e32 v1, vcc, v4, v1
	v_addc_co_u32_e32 v0, vcc, v0, v2, vcc
	v_lshlrev_b32_e32 v2, 4, v56
	v_add_co_u32_e32 v35, vcc, v1, v2
	v_addc_co_u32_e32 v36, vcc, 0, v0, vcc
	s_movk_i32 s6, 0x1000
	v_add_co_u32_e32 v37, vcc, s6, v35
	v_addc_co_u32_e32 v38, vcc, 0, v36, vcc
	v_add_co_u32_e32 v45, vcc, 0x2000, v35
	v_addc_co_u32_e32 v46, vcc, 0, v36, vcc
	global_load_dwordx4 v[4:7], v[35:36], off
	global_load_dwordx4 v[8:11], v[35:36], off offset:1040
	global_load_dwordx4 v[12:15], v[35:36], off offset:2080
	;; [unrolled: 1-line block ×6, first 2 shown]
	s_nop 0
	global_load_dwordx4 v[32:35], v[37:38], off offset:3184
	s_nop 0
	global_load_dwordx4 v[36:39], v[45:46], off offset:128
	global_load_dwordx4 v[41:44], v[45:46], off offset:1168
	v_add3_u32 v2, 0, v40, v2
	v_cmp_eq_u32_e32 vcc, 64, v56
	s_waitcnt vmcnt(9)
	ds_write_b128 v2, v[4:7]
	s_waitcnt vmcnt(8)
	ds_write_b128 v2, v[8:11] offset:1040
	s_waitcnt vmcnt(7)
	ds_write_b128 v2, v[12:15] offset:2080
	;; [unrolled: 2-line block ×9, first 2 shown]
	s_and_saveexec_b64 s[6:7], vcc
	s_cbranch_execz .LBB0_13
; %bb.12:
	v_add_co_u32_e32 v4, vcc, 0x2000, v1
	v_addc_co_u32_e32 v5, vcc, 0, v0, vcc
	global_load_dwordx4 v[4:7], v[4:5], off offset:2208
	v_mov_b32_e32 v56, 64
	s_waitcnt vmcnt(0)
	ds_write_b128 v2, v[4:7] offset:9376
.LBB0_13:
	s_or_b64 exec, exec, s[6:7]
.LBB0_14:
	s_or_b64 exec, exec, s[4:5]
	v_lshl_add_u32 v127, v3, 4, 0
	v_lshlrev_b32_e32 v11, 4, v56
	v_add_u32_e32 v128, v127, v11
	s_waitcnt lgkmcnt(0)
	s_barrier
	v_sub_u32_e32 v10, v127, v11
	ds_read_b64 v[6:7], v128
	ds_read_b64 v[8:9], v10 offset:10400
	s_add_u32 s6, s12, 0x2800
	s_addc_u32 s7, s13, 0
	v_cmp_ne_u32_e32 vcc, 0, v56
                                        ; implicit-def: $vgpr4_vgpr5
	s_waitcnt lgkmcnt(0)
	v_add_f64 v[0:1], v[6:7], v[8:9]
	v_add_f64 v[2:3], v[6:7], -v[8:9]
	s_and_saveexec_b64 s[4:5], vcc
	s_xor_b64 s[4:5], exec, s[4:5]
	s_cbranch_execz .LBB0_16
; %bb.15:
	v_mov_b32_e32 v57, 0
	v_lshlrev_b64 v[0:1], 4, v[56:57]
	v_mov_b32_e32 v2, s7
	v_add_co_u32_e32 v0, vcc, s6, v0
	v_addc_co_u32_e32 v1, vcc, v2, v1, vcc
	global_load_dwordx4 v[2:5], v[0:1], off
	ds_read_b64 v[0:1], v10 offset:10408
	ds_read_b64 v[12:13], v128 offset:8
	v_add_f64 v[14:15], v[6:7], v[8:9]
	v_add_f64 v[8:9], v[6:7], -v[8:9]
	s_waitcnt lgkmcnt(0)
	v_add_f64 v[16:17], v[0:1], v[12:13]
	v_add_f64 v[0:1], v[12:13], -v[0:1]
	s_waitcnt vmcnt(0)
	v_fma_f64 v[6:7], -v[8:9], v[4:5], v[14:15]
	v_fma_f64 v[12:13], v[16:17], v[4:5], -v[0:1]
	v_fma_f64 v[14:15], v[8:9], v[4:5], v[14:15]
	v_fma_f64 v[18:19], v[16:17], v[4:5], v[0:1]
	;; [unrolled: 1-line block ×4, first 2 shown]
	v_fma_f64 v[0:1], -v[16:17], v[2:3], v[14:15]
	v_fma_f64 v[2:3], v[8:9], v[2:3], v[18:19]
	ds_write_b128 v10, v[4:7] offset:10400
	v_mov_b32_e32 v4, v56
	v_mov_b32_e32 v5, v57
.LBB0_16:
	s_andn2_saveexec_b64 s[4:5], s[4:5]
	s_cbranch_execz .LBB0_18
; %bb.17:
	ds_read_b128 v[4:7], v127 offset:5200
	s_waitcnt lgkmcnt(0)
	v_add_f64 v[12:13], v[4:5], v[4:5]
	v_mul_f64 v[14:15], v[6:7], -2.0
	v_mov_b32_e32 v4, 0
	v_mov_b32_e32 v5, 0
	ds_write_b128 v127, v[12:15] offset:5200
.LBB0_18:
	s_or_b64 exec, exec, s[4:5]
	v_lshlrev_b64 v[4:5], 4, v[4:5]
	v_mov_b32_e32 v6, s7
	v_add_co_u32_e32 v24, vcc, s6, v4
	v_addc_co_u32_e32 v25, vcc, v6, v5, vcc
	global_load_dwordx4 v[4:7], v[24:25], off offset:1040
	global_load_dwordx4 v[12:15], v[24:25], off offset:2080
	ds_write_b128 v128, v[0:3]
	ds_read_b128 v[0:3], v128 offset:1040
	ds_read_b128 v[16:19], v10 offset:9360
	global_load_dwordx4 v[20:23], v[24:25], off offset:3120
	s_movk_i32 s4, 0x1000
	v_add3_u32 v129, 0, v11, v40
	s_mov_b32 s16, 0x134454ff
	s_waitcnt lgkmcnt(0)
	v_add_f64 v[8:9], v[0:1], v[16:17]
	v_add_f64 v[26:27], v[18:19], v[2:3]
	v_add_f64 v[16:17], v[0:1], -v[16:17]
	v_add_f64 v[0:1], v[2:3], -v[18:19]
	s_mov_b32 s17, 0xbfee6f0e
	s_mov_b32 s15, 0x3fee6f0e
	;; [unrolled: 1-line block ×12, first 2 shown]
	s_waitcnt vmcnt(2)
	v_fma_f64 v[2:3], v[16:17], v[6:7], v[8:9]
	v_fma_f64 v[18:19], v[26:27], v[6:7], v[0:1]
	v_fma_f64 v[8:9], -v[16:17], v[6:7], v[8:9]
	v_fma_f64 v[28:29], v[26:27], v[6:7], -v[0:1]
	v_fma_f64 v[0:1], -v[26:27], v[4:5], v[2:3]
	v_fma_f64 v[2:3], v[16:17], v[4:5], v[18:19]
	v_fma_f64 v[6:7], v[26:27], v[4:5], v[8:9]
	;; [unrolled: 1-line block ×3, first 2 shown]
	ds_write_b128 v128, v[0:3] offset:1040
	ds_write_b128 v10, v[6:9] offset:9360
	v_add_co_u32_e32 v0, vcc, s4, v24
	v_addc_co_u32_e32 v1, vcc, 0, v25, vcc
	ds_read_b128 v[4:7], v128 offset:2080
	ds_read_b128 v[16:19], v10 offset:8320
	global_load_dwordx4 v[0:3], v[0:1], off offset:64
	s_mov_b32 s4, 0x372fe950
	s_mov_b32 s5, 0x3fd3c6ef
	;; [unrolled: 1-line block ×3, first 2 shown]
	s_waitcnt lgkmcnt(0)
	v_add_f64 v[8:9], v[4:5], v[16:17]
	v_add_f64 v[24:25], v[18:19], v[6:7]
	v_add_f64 v[16:17], v[4:5], -v[16:17]
	v_add_f64 v[4:5], v[6:7], -v[18:19]
	v_cmp_gt_u32_e32 vcc, 50, v56
	s_waitcnt vmcnt(2)
	v_fma_f64 v[6:7], v[16:17], v[14:15], v[8:9]
	v_fma_f64 v[18:19], v[24:25], v[14:15], v[4:5]
	v_fma_f64 v[8:9], -v[16:17], v[14:15], v[8:9]
	v_fma_f64 v[26:27], v[24:25], v[14:15], -v[4:5]
	v_fma_f64 v[4:5], -v[24:25], v[12:13], v[6:7]
	v_fma_f64 v[6:7], v[16:17], v[12:13], v[18:19]
	v_fma_f64 v[14:15], v[24:25], v[12:13], v[8:9]
	;; [unrolled: 1-line block ×3, first 2 shown]
	ds_write_b128 v128, v[4:7] offset:2080
	ds_write_b128 v10, v[14:17] offset:8320
	ds_read_b128 v[4:7], v128 offset:3120
	ds_read_b128 v[12:15], v10 offset:7280
	s_waitcnt lgkmcnt(0)
	v_add_f64 v[8:9], v[4:5], v[12:13]
	v_add_f64 v[16:17], v[14:15], v[6:7]
	v_add_f64 v[18:19], v[4:5], -v[12:13]
	v_add_f64 v[4:5], v[6:7], -v[14:15]
	s_waitcnt vmcnt(1)
	v_fma_f64 v[6:7], v[18:19], v[22:23], v[8:9]
	v_fma_f64 v[12:13], v[16:17], v[22:23], v[4:5]
	v_fma_f64 v[8:9], -v[18:19], v[22:23], v[8:9]
	v_fma_f64 v[14:15], v[16:17], v[22:23], -v[4:5]
	v_fma_f64 v[4:5], -v[16:17], v[20:21], v[6:7]
	v_fma_f64 v[6:7], v[18:19], v[20:21], v[12:13]
	v_fma_f64 v[12:13], v[16:17], v[20:21], v[8:9]
	;; [unrolled: 1-line block ×3, first 2 shown]
	ds_write_b128 v128, v[4:7] offset:3120
	ds_write_b128 v10, v[12:15] offset:7280
	ds_read_b128 v[4:7], v128 offset:4160
	ds_read_b128 v[12:15], v10 offset:6240
	s_waitcnt lgkmcnt(0)
	v_add_f64 v[8:9], v[4:5], v[12:13]
	v_add_f64 v[16:17], v[14:15], v[6:7]
	v_add_f64 v[11:12], v[4:5], -v[12:13]
	v_add_f64 v[4:5], v[6:7], -v[14:15]
	s_waitcnt vmcnt(0)
	v_fma_f64 v[6:7], v[11:12], v[2:3], v[8:9]
	v_fma_f64 v[13:14], v[16:17], v[2:3], v[4:5]
	v_fma_f64 v[8:9], -v[11:12], v[2:3], v[8:9]
	v_fma_f64 v[18:19], v[16:17], v[2:3], -v[4:5]
	v_fma_f64 v[2:3], -v[16:17], v[0:1], v[6:7]
	v_fma_f64 v[4:5], v[11:12], v[0:1], v[13:14]
	v_fma_f64 v[6:7], v[16:17], v[0:1], v[8:9]
	;; [unrolled: 1-line block ×3, first 2 shown]
	ds_write_b128 v128, v[2:5] offset:4160
	ds_write_b128 v10, v[6:9] offset:6240
	s_waitcnt lgkmcnt(0)
	s_barrier
	s_barrier
	ds_read_b128 v[0:3], v128
	ds_read_b128 v[4:7], v129 offset:1040
	ds_read_b128 v[8:11], v129 offset:2080
	ds_read_b128 v[12:15], v129 offset:3120
	ds_read_b128 v[16:19], v129 offset:4160
	ds_read_b128 v[20:23], v129 offset:5200
	ds_read_b128 v[24:27], v129 offset:6240
	ds_read_b128 v[28:31], v129 offset:8320
	ds_read_b128 v[32:35], v129 offset:7280
	ds_read_b128 v[36:39], v129 offset:9360
	s_waitcnt lgkmcnt(7)
	v_add_f64 v[41:42], v[0:1], v[8:9]
	s_waitcnt lgkmcnt(3)
	v_add_f64 v[43:44], v[16:17], v[24:25]
	v_add_f64 v[49:50], v[8:9], -v[16:17]
	s_waitcnt lgkmcnt(2)
	v_add_f64 v[57:58], v[28:29], -v[24:25]
	v_add_f64 v[59:60], v[8:9], v[28:29]
	v_add_f64 v[61:62], v[16:17], -v[8:9]
	v_add_f64 v[63:64], v[24:25], -v[28:29]
	v_add_f64 v[67:68], v[18:19], v[26:27]
	v_add_f64 v[75:76], v[10:11], v[30:31]
	;; [unrolled: 1-line block ×3, first 2 shown]
	s_waitcnt lgkmcnt(1)
	v_add_f64 v[81:82], v[20:21], v[32:33]
	v_add_f64 v[97:98], v[6:7], v[14:15]
	;; [unrolled: 1-line block ×3, first 2 shown]
	s_waitcnt lgkmcnt(0)
	v_add_f64 v[107:108], v[14:15], v[38:39]
	v_add_f64 v[45:46], v[10:11], -v[30:31]
	v_add_f64 v[47:48], v[18:19], -v[26:27]
	v_add_f64 v[65:66], v[2:3], v[10:11]
	v_add_f64 v[69:70], v[16:17], -v[24:25]
	v_add_f64 v[71:72], v[10:11], -v[18:19]
	;; [unrolled: 1-line block ×6, first 2 shown]
	v_add_f64 v[91:92], v[12:13], v[36:37]
	v_add_f64 v[93:94], v[20:21], -v[12:13]
	v_add_f64 v[12:13], v[12:13], -v[36:37]
	;; [unrolled: 1-line block ×5, first 2 shown]
	v_add_f64 v[16:17], v[41:42], v[16:17]
	v_fma_f64 v[41:42], v[43:44], -0.5, v[0:1]
	v_add_f64 v[43:44], v[49:50], v[57:58]
	v_fma_f64 v[0:1], v[59:60], -0.5, v[0:1]
	;; [unrolled: 2-line block ×3, first 2 shown]
	v_fma_f64 v[2:3], v[75:76], -0.5, v[2:3]
	v_add_f64 v[20:21], v[79:80], v[20:21]
	v_fma_f64 v[61:62], v[81:82], -0.5, v[4:5]
	v_add_f64 v[22:23], v[97:98], v[22:23]
	v_fma_f64 v[67:68], v[99:100], -0.5, v[6:7]
	v_fma_f64 v[6:7], v[107:108], -0.5, v[6:7]
	v_add_f64 v[8:9], v[8:9], -v[28:29]
	v_add_f64 v[10:11], v[18:19], -v[10:11]
	;; [unrolled: 1-line block ×7, first 2 shown]
	v_add_f64 v[18:19], v[65:66], v[18:19]
	v_add_f64 v[59:60], v[71:72], v[73:74]
	v_fma_f64 v[4:5], v[91:92], -0.5, v[4:5]
	v_add_f64 v[16:17], v[16:17], v[24:25]
	v_fma_f64 v[24:25], v[45:46], s[16:17], v[41:42]
	v_fma_f64 v[41:42], v[45:46], s[14:15], v[41:42]
	;; [unrolled: 1-line block ×6, first 2 shown]
	v_add_f64 v[20:21], v[20:21], v[32:33]
	v_fma_f64 v[32:33], v[83:84], s[16:17], v[61:62]
	v_add_f64 v[22:23], v[22:23], v[34:35]
	v_fma_f64 v[34:35], v[12:13], s[14:15], v[67:68]
	v_fma_f64 v[79:80], v[101:102], s[16:17], v[6:7]
	;; [unrolled: 1-line block ×4, first 2 shown]
	v_add_f64 v[10:11], v[10:11], v[77:78]
	v_add_f64 v[63:64], v[87:88], v[89:90]
	v_add_f64 v[71:72], v[103:104], v[105:106]
	v_add_f64 v[18:19], v[18:19], v[26:27]
	v_fma_f64 v[26:27], v[8:9], s[14:15], v[57:58]
	v_fma_f64 v[57:58], v[8:9], s[16:17], v[57:58]
	;; [unrolled: 1-line block ×3, first 2 shown]
	v_add_f64 v[28:29], v[16:17], v[28:29]
	v_fma_f64 v[16:17], v[47:48], s[6:7], v[24:25]
	v_fma_f64 v[24:25], v[47:48], s[8:9], v[41:42]
	;; [unrolled: 1-line block ×8, first 2 shown]
	v_add_f64 v[14:15], v[14:15], v[109:110]
	v_fma_f64 v[47:48], v[12:13], s[8:9], v[79:80]
	v_fma_f64 v[61:62], v[83:84], s[14:15], v[61:62]
	;; [unrolled: 1-line block ×4, first 2 shown]
	v_add_f64 v[22:23], v[22:23], v[38:39]
	v_fma_f64 v[38:39], v[101:102], s[6:7], v[67:68]
	v_add_f64 v[65:66], v[93:94], v[95:96]
	v_add_f64 v[30:31], v[18:19], v[30:31]
	v_fma_f64 v[18:19], v[69:70], s[8:9], v[26:27]
	v_add_f64 v[20:21], v[20:21], v[36:37]
	v_fma_f64 v[36:37], v[83:84], s[6:7], v[77:78]
	v_fma_f64 v[8:9], v[63:64], s[4:5], v[8:9]
	;; [unrolled: 1-line block ×13, first 2 shown]
	v_mul_f64 v[24:25], v[12:13], s[6:7]
	v_mul_f64 v[36:37], v[8:9], s[8:9]
	v_fma_f64 v[59:60], v[59:60], s[4:5], v[26:27]
	v_mul_f64 v[26:27], v[16:17], s[16:17]
	v_mul_f64 v[16:17], v[16:17], s[4:5]
	v_fma_f64 v[45:46], v[10:11], s[4:5], v[45:46]
	v_fma_f64 v[67:68], v[10:11], s[4:5], v[2:3]
	;; [unrolled: 1-line block ×4, first 2 shown]
	v_mul_f64 v[32:33], v[6:7], s[16:17]
	v_mul_f64 v[6:7], v[6:7], s[20:21]
	;; [unrolled: 1-line block ×4, first 2 shown]
	v_fma_f64 v[24:25], v[8:9], s[18:19], v[24:25]
	v_fma_f64 v[38:39], v[12:13], s[18:19], v[36:37]
	;; [unrolled: 1-line block ×10, first 2 shown]
	v_add_f64 v[0:1], v[28:29], v[20:21]
	v_add_f64 v[2:3], v[30:31], v[22:23]
	;; [unrolled: 1-line block ×10, first 2 shown]
	v_add_f64 v[20:21], v[28:29], -v[20:21]
	v_add_f64 v[22:23], v[30:31], -v[22:23]
	;; [unrolled: 1-line block ×5, first 2 shown]
	s_movk_i32 s18, 0x90
	v_add_f64 v[30:31], v[45:46], -v[47:48]
	v_mad_u32_u24 v41, v56, s18, v129
	s_movk_i32 s18, 0xcd
	v_add_f64 v[32:33], v[49:50], -v[32:33]
	v_add_f64 v[36:37], v[43:44], -v[34:35]
	;; [unrolled: 1-line block ×4, first 2 shown]
	s_barrier
	ds_write_b128 v41, v[0:3]
	ds_write_b128 v41, v[4:7] offset:16
	ds_write_b128 v41, v[8:11] offset:32
	;; [unrolled: 1-line block ×9, first 2 shown]
	v_mul_lo_u16_sdwa v0, v56, s18 dst_sel:DWORD dst_unused:UNUSED_PAD src0_sel:BYTE_0 src1_sel:DWORD
	v_lshrrev_b16_e32 v41, 11, v0
	v_mul_lo_u16_e32 v0, 10, v41
	v_sub_u16_e32 v42, v56, v0
	v_mov_b32_e32 v16, 6
	v_lshlrev_b32_sdwa v17, v16, v42 dst_sel:DWORD dst_unused:UNUSED_PAD src0_sel:DWORD src1_sel:BYTE_0
	s_waitcnt lgkmcnt(0)
	s_barrier
	global_load_dwordx4 v[0:3], v17, s[12:13] offset:16
	global_load_dwordx4 v[4:7], v17, s[12:13]
	global_load_dwordx4 v[8:11], v17, s[12:13] offset:48
	global_load_dwordx4 v[12:15], v17, s[12:13] offset:32
	v_add_u16_e32 v17, 0x41, v56
	v_mul_lo_u16_sdwa v18, v17, s18 dst_sel:DWORD dst_unused:UNUSED_PAD src0_sel:BYTE_0 src1_sel:DWORD
	v_lshrrev_b16_e32 v97, 11, v18
	v_mul_lo_u16_e32 v18, 10, v97
	v_sub_u16_e32 v43, v17, v18
	v_lshlrev_b32_sdwa v32, v16, v43 dst_sel:DWORD dst_unused:UNUSED_PAD src0_sel:DWORD src1_sel:BYTE_0
	global_load_dwordx4 v[16:19], v32, s[12:13]
	global_load_dwordx4 v[20:23], v32, s[12:13] offset:16
	global_load_dwordx4 v[24:27], v32, s[12:13] offset:32
	;; [unrolled: 1-line block ×3, first 2 shown]
	ds_read_b128 v[32:35], v128
	ds_read_b128 v[36:39], v129 offset:1040
	ds_read_b128 v[44:47], v129 offset:2080
	;; [unrolled: 1-line block ×9, first 2 shown]
	s_waitcnt vmcnt(0) lgkmcnt(0)
	s_barrier
	v_mul_f64 v[83:84], v[59:60], v[2:3]
	v_mul_f64 v[81:82], v[46:47], v[6:7]
	;; [unrolled: 1-line block ×9, first 2 shown]
	v_fma_f64 v[44:45], v[44:45], v[4:5], v[81:82]
	v_mul_f64 v[95:96], v[79:80], v[30:31]
	v_mul_f64 v[30:31], v[77:78], v[30:31]
	v_fma_f64 v[6:7], v[46:47], v[4:5], -v[6:7]
	v_fma_f64 v[4:5], v[57:58], v[0:1], v[83:84]
	v_fma_f64 v[46:47], v[59:60], v[0:1], -v[2:3]
	v_fma_f64 v[0:1], v[65:66], v[12:13], v[85:86]
	v_fma_f64 v[2:3], v[73:74], v[8:9], v[87:88]
	v_mul_f64 v[89:90], v[50:51], v[18:19]
	v_mul_f64 v[18:19], v[48:49], v[18:19]
	;; [unrolled: 1-line block ×5, first 2 shown]
	v_fma_f64 v[14:15], v[67:68], v[12:13], -v[14:15]
	v_fma_f64 v[10:11], v[75:76], v[8:9], -v[10:11]
	v_fma_f64 v[57:58], v[61:62], v[20:21], v[91:92]
	v_fma_f64 v[61:62], v[77:78], v[28:29], v[95:96]
	v_fma_f64 v[30:31], v[79:80], v[28:29], -v[30:31]
	v_add_f64 v[12:13], v[4:5], v[0:1]
	v_add_f64 v[28:29], v[44:45], v[2:3]
	v_fma_f64 v[48:49], v[48:49], v[16:17], v[89:90]
	v_fma_f64 v[50:51], v[50:51], v[16:17], -v[18:19]
	v_fma_f64 v[22:23], v[63:64], v[20:21], -v[22:23]
	v_fma_f64 v[59:60], v[69:70], v[24:25], v[93:94]
	v_fma_f64 v[26:27], v[71:72], v[24:25], -v[26:27]
	v_add_f64 v[8:9], v[32:33], v[44:45]
	v_add_f64 v[16:17], v[6:7], -v[10:11]
	v_add_f64 v[18:19], v[46:47], -v[14:15]
	;; [unrolled: 1-line block ×6, first 2 shown]
	v_add_f64 v[67:68], v[34:35], v[6:7]
	v_fma_f64 v[12:13], v[12:13], -0.5, v[32:33]
	v_fma_f64 v[28:29], v[28:29], -0.5, v[32:33]
	v_add_f64 v[69:70], v[46:47], v[14:15]
	v_add_f64 v[71:72], v[4:5], -v[0:1]
	v_add_f64 v[77:78], v[6:7], v[10:11]
	v_add_f64 v[4:5], v[8:9], v[4:5]
	;; [unrolled: 1-line block ×5, first 2 shown]
	v_fma_f64 v[63:64], v[16:17], s[16:17], v[12:13]
	v_fma_f64 v[12:13], v[16:17], s[14:15], v[12:13]
	;; [unrolled: 1-line block ×4, first 2 shown]
	v_add_f64 v[44:45], v[44:45], -v[2:3]
	v_add_f64 v[81:82], v[57:58], v[59:60]
	v_fma_f64 v[32:33], v[69:70], -0.5, v[34:35]
	v_fma_f64 v[34:35], v[77:78], -0.5, v[34:35]
	v_add_f64 v[0:1], v[4:5], v[0:1]
	v_add_f64 v[4:5], v[24:25], v[14:15]
	v_fma_f64 v[63:64], v[18:19], s[6:7], v[63:64]
	v_fma_f64 v[12:13], v[18:19], s[8:9], v[12:13]
	;; [unrolled: 1-line block ×4, first 2 shown]
	v_add_f64 v[73:74], v[6:7], -v[46:47]
	v_add_f64 v[75:76], v[10:11], -v[14:15]
	v_add_f64 v[79:80], v[36:37], v[48:49]
	v_fma_f64 v[24:25], v[44:45], s[14:15], v[32:33]
	v_fma_f64 v[65:66], v[81:82], -0.5, v[36:37]
	v_add_f64 v[0:1], v[0:1], v[2:3]
	v_add_f64 v[2:3], v[4:5], v[10:11]
	v_fma_f64 v[4:5], v[8:9], s[4:5], v[63:64]
	v_fma_f64 v[16:17], v[8:9], s[4:5], v[12:13]
	;; [unrolled: 1-line block ×4, first 2 shown]
	v_add_f64 v[28:29], v[50:51], -v[30:31]
	v_fma_f64 v[20:21], v[44:45], s[16:17], v[32:33]
	v_fma_f64 v[32:33], v[71:72], s[16:17], v[34:35]
	v_add_f64 v[6:7], v[46:47], -v[6:7]
	v_add_f64 v[10:11], v[14:15], -v[10:11]
	v_add_f64 v[18:19], v[73:74], v[75:76]
	v_fma_f64 v[14:15], v[71:72], s[14:15], v[34:35]
	v_add_f64 v[34:35], v[79:80], v[57:58]
	v_fma_f64 v[46:47], v[28:29], s[16:17], v[65:66]
	v_add_f64 v[63:64], v[22:23], -v[26:27]
	v_add_f64 v[67:68], v[48:49], -v[57:58]
	;; [unrolled: 1-line block ×3, first 2 shown]
	v_fma_f64 v[32:33], v[44:45], s[8:9], v[32:33]
	v_add_f64 v[73:74], v[6:7], v[10:11]
	v_fma_f64 v[24:25], v[71:72], s[8:9], v[24:25]
	v_fma_f64 v[20:21], v[71:72], s[6:7], v[20:21]
	v_add_f64 v[71:72], v[48:49], v[61:62]
	v_fma_f64 v[14:15], v[44:45], s[6:7], v[14:15]
	v_add_f64 v[34:35], v[34:35], v[59:60]
	;; [unrolled: 2-line block ×4, first 2 shown]
	v_add_f64 v[67:68], v[50:51], v[30:31]
	v_fma_f64 v[6:7], v[18:19], s[4:5], v[24:25]
	v_fma_f64 v[36:37], v[71:72], -0.5, v[36:37]
	v_fma_f64 v[18:19], v[18:19], s[4:5], v[20:21]
	v_add_f64 v[20:21], v[34:35], v[61:62]
	v_fma_f64 v[34:35], v[28:29], s[14:15], v[65:66]
	v_add_f64 v[65:66], v[57:58], -v[48:49]
	v_add_f64 v[69:70], v[59:60], -v[61:62]
	v_add_f64 v[71:72], v[38:39], v[50:51]
	v_fma_f64 v[32:33], v[32:33], -0.5, v[38:39]
	v_add_f64 v[48:49], v[48:49], -v[61:62]
	v_add_f64 v[57:58], v[57:58], -v[59:60]
	v_fma_f64 v[38:39], v[67:68], -0.5, v[38:39]
	v_fma_f64 v[24:25], v[46:47], s[4:5], v[44:45]
	v_fma_f64 v[44:45], v[63:64], s[14:15], v[36:37]
	;; [unrolled: 1-line block ×3, first 2 shown]
	v_add_f64 v[59:60], v[65:66], v[69:70]
	v_fma_f64 v[36:37], v[63:64], s[16:17], v[36:37]
	v_add_f64 v[61:62], v[71:72], v[22:23]
	v_fma_f64 v[63:64], v[48:49], s[14:15], v[32:33]
	v_add_f64 v[65:66], v[50:51], -v[22:23]
	v_add_f64 v[67:68], v[30:31], -v[26:27]
	v_fma_f64 v[32:33], v[48:49], s[16:17], v[32:33]
	v_fma_f64 v[69:70], v[57:58], s[16:17], v[38:39]
	v_add_f64 v[22:23], v[22:23], -v[50:51]
	v_add_f64 v[50:51], v[26:27], -v[30:31]
	v_fma_f64 v[38:39], v[57:58], s[14:15], v[38:39]
	v_fma_f64 v[44:45], v[28:29], s[6:7], v[44:45]
	;; [unrolled: 1-line block ×3, first 2 shown]
	v_add_f64 v[26:27], v[61:62], v[26:27]
	v_fma_f64 v[61:62], v[57:58], s[8:9], v[63:64]
	v_add_f64 v[63:64], v[65:66], v[67:68]
	v_fma_f64 v[57:58], v[57:58], s[6:7], v[32:33]
	v_fma_f64 v[65:66], v[48:49], s[8:9], v[69:70]
	v_add_f64 v[50:51], v[22:23], v[50:51]
	v_fma_f64 v[48:49], v[48:49], s[6:7], v[38:39]
	v_fma_f64 v[14:15], v[73:74], s[4:5], v[14:15]
	;; [unrolled: 1-line block ×5, first 2 shown]
	v_add_f64 v[22:23], v[26:27], v[30:31]
	v_fma_f64 v[26:27], v[63:64], s[4:5], v[61:62]
	v_fma_f64 v[38:39], v[63:64], s[4:5], v[57:58]
	;; [unrolled: 1-line block ×4, first 2 shown]
	s_movk_i32 s4, 0x320
	v_mov_b32_e32 v44, 4
	v_mad_u32_u24 v41, v41, s4, 0
	v_lshlrev_b32_sdwa v42, v44, v42 dst_sel:DWORD dst_unused:UNUSED_PAD src0_sel:DWORD src1_sel:BYTE_0
	v_add3_u32 v41, v41, v42, v40
	ds_write_b128 v41, v[0:3]
	ds_write_b128 v41, v[4:7] offset:160
	ds_write_b128 v41, v[8:11] offset:320
	;; [unrolled: 1-line block ×4, first 2 shown]
	v_mad_u32_u24 v41, v97, s4, 0
	v_lshlrev_b32_sdwa v42, v44, v43 dst_sel:DWORD dst_unused:UNUSED_PAD src0_sel:DWORD src1_sel:BYTE_0
	v_add3_u32 v40, v41, v42, v40
	ds_write_b128 v40, v[20:23]
	ds_write_b128 v40, v[24:27] offset:160
	ds_write_b128 v40, v[32:35] offset:320
	;; [unrolled: 1-line block ×4, first 2 shown]
	s_waitcnt lgkmcnt(0)
	s_barrier
	s_waitcnt lgkmcnt(0)
                                        ; implicit-def: $vgpr50_vgpr51
                                        ; implicit-def: $vgpr46_vgpr47
                                        ; implicit-def: $vgpr42_vgpr43
	s_and_saveexec_b64 s[4:5], vcc
	s_cbranch_execz .LBB0_20
; %bb.19:
	ds_read_b128 v[0:3], v128
	ds_read_b128 v[4:7], v129 offset:800
	ds_read_b128 v[8:11], v129 offset:1600
	;; [unrolled: 1-line block ×12, first 2 shown]
.LBB0_20:
	s_or_b64 exec, exec, s[4:5]
	s_waitcnt lgkmcnt(0)
	s_barrier
	s_and_saveexec_b64 s[4:5], vcc
	s_cbranch_execz .LBB0_22
; %bb.21:
	v_subrev_u32_e32 v57, 50, v56
	v_cndmask_b32_e32 v57, v57, v56, vcc
	v_mul_i32_i24_e32 v57, 12, v57
	v_mov_b32_e32 v58, 0
	v_lshlrev_b64 v[57:58], 4, v[57:58]
	v_mov_b32_e32 v59, s13
	v_add_co_u32_e32 v61, vcc, s12, v57
	v_addc_co_u32_e32 v62, vcc, v59, v58, vcc
	global_load_dwordx4 v[57:60], v[61:62], off offset:720
	global_load_dwordx4 v[63:66], v[61:62], off offset:736
	;; [unrolled: 1-line block ×12, first 2 shown]
	s_mov_b32 s8, 0x4bc48dbf
	s_mov_b32 s9, 0xbfcea1e5
	;; [unrolled: 1-line block ×32, first 2 shown]
	s_waitcnt vmcnt(11)
	v_mul_f64 v[61:62], v[26:27], v[59:60]
	s_waitcnt vmcnt(10)
	v_mul_f64 v[83:84], v[34:35], v[65:66]
	v_mul_f64 v[93:94], v[32:33], v[65:66]
	;; [unrolled: 1-line block ×3, first 2 shown]
	s_waitcnt vmcnt(7)
	v_mul_f64 v[117:118], v[18:19], v[77:78]
	s_waitcnt vmcnt(6)
	v_mul_f64 v[119:120], v[38:39], v[81:82]
	;; [unrolled: 2-line block ×5, first 2 shown]
	v_mul_f64 v[91:92], v[4:5], v[91:92]
	s_waitcnt vmcnt(2)
	v_mul_f64 v[132:133], v[46:47], v[101:102]
	v_mul_f64 v[134:135], v[48:49], v[97:98]
	v_fma_f64 v[65:66], v[24:25], v[57:58], v[61:62]
	v_fma_f64 v[61:62], v[32:33], v[63:64], v[83:84]
	v_fma_f64 v[63:64], v[34:35], v[63:64], -v[93:94]
	v_fma_f64 v[93:94], v[16:17], v[75:76], v[117:118]
	v_fma_f64 v[117:118], v[4:5], v[89:90], v[125:126]
	;; [unrolled: 1-line block ×3, first 2 shown]
	v_mul_f64 v[103:104], v[22:23], v[69:70]
	v_mul_f64 v[109:110], v[20:21], v[69:70]
	;; [unrolled: 1-line block ×6, first 2 shown]
	s_waitcnt vmcnt(1)
	v_mul_f64 v[136:137], v[14:15], v[107:108]
	v_mul_f64 v[138:139], v[12:13], v[107:108]
	s_waitcnt vmcnt(0)
	v_mul_f64 v[140:141], v[42:43], v[113:114]
	v_fma_f64 v[69:70], v[26:27], v[57:58], -v[59:60]
	v_fma_f64 v[57:58], v[36:37], v[79:80], v[119:120]
	v_fma_f64 v[107:108], v[8:9], v[85:86], v[121:122]
	v_fma_f64 v[119:120], v[6:7], v[89:90], -v[91:92]
	v_fma_f64 v[36:37], v[44:45], v[99:100], v[132:133]
	v_fma_f64 v[34:35], v[50:51], v[95:96], -v[134:135]
	v_add_f64 v[24:25], v[117:118], -v[32:33]
	v_mul_f64 v[113:114], v[40:41], v[113:114]
	v_fma_f64 v[83:84], v[20:21], v[67:68], v[103:104]
	v_fma_f64 v[87:88], v[22:23], v[67:68], -v[109:110]
	v_fma_f64 v[59:60], v[38:39], v[79:80], -v[81:82]
	;; [unrolled: 1-line block ×4, first 2 shown]
	v_fma_f64 v[103:104], v[12:13], v[105:106], v[136:137]
	v_fma_f64 v[40:41], v[40:41], v[111:112], v[140:141]
	;; [unrolled: 1-line block ×3, first 2 shown]
	v_add_f64 v[115:116], v[107:108], -v[36:37]
	v_add_f64 v[123:124], v[119:120], v[34:35]
	v_add_f64 v[125:126], v[119:120], -v[34:35]
	v_mul_f64 v[4:5], v[24:25], s[8:9]
	v_mul_f64 v[77:78], v[16:17], v[77:78]
	v_fma_f64 v[105:106], v[14:15], v[105:106], -v[138:139]
	v_fma_f64 v[42:43], v[42:43], v[111:112], -v[113:114]
	v_add_f64 v[89:90], v[109:110], v[38:39]
	v_add_f64 v[121:122], v[117:118], v[32:33]
	v_add_f64 v[99:100], v[109:110], -v[38:39]
	v_add_f64 v[113:114], v[103:104], -v[40:41]
	v_mul_f64 v[6:7], v[115:116], s[26:27]
	v_mul_f64 v[8:9], v[125:126], s[8:9]
	v_fma_f64 v[10:11], v[123:124], s[6:7], v[4:5]
	v_mul_f64 v[73:74], v[28:29], v[73:74]
	v_fma_f64 v[97:98], v[18:19], v[75:76], -v[77:78]
	v_add_f64 v[85:86], v[107:108], v[36:37]
	v_add_f64 v[81:82], v[105:106], v[42:43]
	v_add_f64 v[95:96], v[105:106], -v[42:43]
	v_add_f64 v[111:112], v[93:94], -v[57:58]
	v_mul_f64 v[12:13], v[99:100], s[26:27]
	v_mul_f64 v[14:15], v[113:114], s[16:17]
	v_fma_f64 v[16:17], v[89:90], s[12:13], v[6:7]
	v_fma_f64 v[18:19], v[121:122], s[6:7], -v[8:9]
	v_add_f64 v[10:11], v[2:3], v[10:11]
	v_fma_f64 v[67:68], v[30:31], v[71:72], -v[73:74]
	v_add_f64 v[79:80], v[103:104], v[40:41]
	v_add_f64 v[77:78], v[97:98], v[59:60]
	v_add_f64 v[91:92], v[97:98], -v[59:60]
	v_add_f64 v[101:102], v[83:84], -v[50:51]
	v_mul_f64 v[20:21], v[95:96], s[16:17]
	v_mul_f64 v[22:23], v[111:112], s[34:35]
	v_fma_f64 v[132:133], v[85:86], s[12:13], -v[12:13]
	v_fma_f64 v[134:135], v[81:82], s[14:15], v[14:15]
	v_add_f64 v[18:19], v[0:1], v[18:19]
	v_add_f64 v[10:11], v[16:17], v[10:11]
	;; [unrolled: 1-line block ×4, first 2 shown]
	v_add_f64 v[75:76], v[87:88], -v[67:68]
	v_add_f64 v[48:49], v[65:66], -v[61:62]
	v_mul_f64 v[26:27], v[91:92], s[34:35]
	v_mul_f64 v[130:131], v[101:102], s[22:23]
	v_fma_f64 v[140:141], v[79:80], s[14:15], -v[20:21]
	v_fma_f64 v[142:143], v[77:78], s[18:19], v[22:23]
	v_fma_f64 v[4:5], v[123:124], s[6:7], -v[4:5]
	v_add_f64 v[18:19], v[132:133], v[18:19]
	v_add_f64 v[10:11], v[134:135], v[10:11]
	;; [unrolled: 1-line block ×4, first 2 shown]
	v_mul_f64 v[16:17], v[75:76], s[22:23]
	v_mul_f64 v[136:137], v[48:49], s[28:29]
	;; [unrolled: 1-line block ×3, first 2 shown]
	v_fma_f64 v[134:135], v[73:74], s[18:19], -v[26:27]
	v_fma_f64 v[144:145], v[71:72], s[20:21], v[130:131]
	v_fma_f64 v[6:7], v[89:90], s[12:13], -v[6:7]
	v_fma_f64 v[8:9], v[121:122], s[6:7], v[8:9]
	v_add_f64 v[4:5], v[2:3], v[4:5]
	v_add_f64 v[18:19], v[140:141], v[18:19]
	;; [unrolled: 1-line block ×3, first 2 shown]
	v_fma_f64 v[140:141], v[46:47], s[20:21], -v[16:17]
	v_fma_f64 v[142:143], v[44:45], s[24:25], v[136:137]
	v_fma_f64 v[12:13], v[85:86], s[12:13], v[12:13]
	v_fma_f64 v[14:15], v[81:82], s[14:15], -v[14:15]
	v_add_f64 v[8:9], v[0:1], v[8:9]
	v_add_f64 v[4:5], v[6:7], v[4:5]
	;; [unrolled: 1-line block ×4, first 2 shown]
	v_fma_f64 v[18:19], v[123:124], s[14:15], v[132:133]
	v_mul_f64 v[134:135], v[115:116], s[28:29]
	v_add_f64 v[30:31], v[69:70], -v[63:64]
	v_fma_f64 v[22:23], v[77:78], s[18:19], -v[22:23]
	v_add_f64 v[8:9], v[12:13], v[8:9]
	v_fma_f64 v[20:21], v[79:80], s[14:15], v[20:21]
	v_add_f64 v[12:13], v[140:141], v[6:7]
	v_add_f64 v[6:7], v[142:143], v[10:11]
	;; [unrolled: 1-line block ×3, first 2 shown]
	v_fma_f64 v[18:19], v[89:90], s[24:25], v[134:135]
	v_mul_f64 v[140:141], v[113:114], s[30:31]
	v_add_f64 v[4:5], v[14:15], v[4:5]
	v_mul_f64 v[14:15], v[125:126], s[16:17]
	v_mul_f64 v[144:145], v[111:112], s[40:41]
	v_add_f64 v[28:29], v[65:66], v[61:62]
	v_mul_f64 v[138:139], v[30:31], s[28:29]
	v_fma_f64 v[26:27], v[73:74], s[18:19], v[26:27]
	v_add_f64 v[10:11], v[18:19], v[10:11]
	v_fma_f64 v[18:19], v[81:82], s[18:19], v[140:141]
	v_add_f64 v[22:23], v[22:23], v[4:5]
	v_add_f64 v[4:5], v[20:21], v[8:9]
	v_fma_f64 v[8:9], v[121:122], s[14:15], -v[14:15]
	v_mul_f64 v[20:21], v[99:100], s[28:29]
	v_fma_f64 v[142:143], v[28:29], s[24:25], -v[138:139]
	v_mul_f64 v[148:149], v[95:96], s[30:31]
	v_fma_f64 v[130:131], v[71:72], s[20:21], -v[130:131]
	v_add_f64 v[10:11], v[18:19], v[10:11]
	v_fma_f64 v[18:19], v[77:78], s[6:7], v[144:145]
	v_mul_f64 v[150:151], v[101:102], s[26:27]
	v_add_f64 v[8:9], v[0:1], v[8:9]
	v_fma_f64 v[146:147], v[85:86], s[24:25], -v[20:21]
	v_add_f64 v[26:27], v[26:27], v[4:5]
	v_fma_f64 v[16:17], v[46:47], s[20:21], v[16:17]
	v_mul_f64 v[152:153], v[91:92], s[40:41]
	v_add_f64 v[4:5], v[142:143], v[12:13]
	v_add_f64 v[10:11], v[18:19], v[10:11]
	v_fma_f64 v[18:19], v[123:124], s[14:15], -v[132:133]
	v_add_f64 v[12:13], v[130:131], v[22:23]
	v_add_f64 v[8:9], v[146:147], v[8:9]
	v_fma_f64 v[146:147], v[79:80], s[18:19], -v[148:149]
	v_fma_f64 v[22:23], v[71:72], s[12:13], v[150:151]
	v_mul_f64 v[132:133], v[48:49], s[22:23]
	v_fma_f64 v[136:137], v[44:45], s[24:25], -v[136:137]
	v_fma_f64 v[134:135], v[89:90], s[24:25], -v[134:135]
	v_add_f64 v[18:19], v[2:3], v[18:19]
	v_add_f64 v[16:17], v[16:17], v[26:27]
	v_fma_f64 v[26:27], v[73:74], s[6:7], -v[152:153]
	v_add_f64 v[8:9], v[146:147], v[8:9]
	v_mul_f64 v[130:131], v[75:76], s[26:27]
	v_add_f64 v[22:23], v[22:23], v[10:11]
	v_fma_f64 v[146:147], v[44:45], s[20:21], v[132:133]
	v_add_f64 v[10:11], v[136:137], v[12:13]
	v_add_f64 v[12:13], v[134:135], v[18:19]
	v_fma_f64 v[18:19], v[121:122], s[14:15], v[14:15]
	v_fma_f64 v[138:139], v[28:29], s[24:25], v[138:139]
	v_add_f64 v[26:27], v[26:27], v[8:9]
	v_fma_f64 v[142:143], v[46:47], s[12:13], -v[130:131]
	v_mul_f64 v[136:137], v[30:31], s[22:23]
	v_add_f64 v[14:15], v[146:147], v[22:23]
	v_mul_f64 v[22:23], v[24:25], s[22:23]
	v_fma_f64 v[20:21], v[85:86], s[24:25], v[20:21]
	v_add_f64 v[18:19], v[0:1], v[18:19]
	v_fma_f64 v[134:135], v[81:82], s[18:19], -v[140:141]
	v_add_f64 v[8:9], v[138:139], v[16:17]
	v_add_f64 v[16:17], v[142:143], v[26:27]
	v_fma_f64 v[26:27], v[28:29], s[20:21], -v[136:137]
	v_mul_f64 v[142:143], v[115:116], s[38:39]
	v_fma_f64 v[140:141], v[123:124], s[20:21], v[22:23]
	v_mul_f64 v[138:139], v[125:126], s[22:23]
	v_add_f64 v[18:19], v[20:21], v[18:19]
	v_fma_f64 v[20:21], v[79:80], s[18:19], v[148:149]
	v_add_f64 v[134:135], v[134:135], v[12:13]
	v_fma_f64 v[144:145], v[77:78], s[6:7], -v[144:145]
	v_add_f64 v[12:13], v[26:27], v[16:17]
	v_fma_f64 v[26:27], v[89:90], s[14:15], v[142:143]
	v_add_f64 v[16:17], v[2:3], v[140:141]
	v_mul_f64 v[140:141], v[113:114], s[26:27]
	v_fma_f64 v[152:153], v[73:74], s[6:7], v[152:153]
	v_add_f64 v[18:19], v[20:21], v[18:19]
	v_fma_f64 v[146:147], v[121:122], s[20:21], -v[138:139]
	v_mul_f64 v[148:149], v[99:100], s[38:39]
	v_add_f64 v[134:135], v[144:145], v[134:135]
	v_mul_f64 v[154:155], v[111:112], s[36:37]
	v_add_f64 v[16:17], v[26:27], v[16:17]
	v_fma_f64 v[26:27], v[81:82], s[12:13], v[140:141]
	v_fma_f64 v[150:151], v[71:72], s[12:13], -v[150:151]
	v_add_f64 v[18:19], v[152:153], v[18:19]
	v_fma_f64 v[130:131], v[46:47], s[12:13], v[130:131]
	v_add_f64 v[20:21], v[0:1], v[146:147]
	v_fma_f64 v[144:145], v[85:86], s[14:15], -v[148:149]
	v_mul_f64 v[146:147], v[95:96], s[26:27]
	v_mul_f64 v[152:153], v[101:102], s[40:41]
	v_add_f64 v[16:17], v[26:27], v[16:17]
	v_fma_f64 v[26:27], v[77:78], s[24:25], v[154:155]
	v_add_f64 v[134:135], v[150:151], v[134:135]
	v_add_f64 v[130:131], v[130:131], v[18:19]
	v_fma_f64 v[18:19], v[44:45], s[20:21], -v[132:133]
	v_fma_f64 v[22:23], v[123:124], s[20:21], -v[22:23]
	v_add_f64 v[20:21], v[144:145], v[20:21]
	v_fma_f64 v[144:145], v[79:80], s[12:13], -v[146:147]
	v_mul_f64 v[156:157], v[91:92], s[36:37]
	v_add_f64 v[16:17], v[26:27], v[16:17]
	v_fma_f64 v[26:27], v[71:72], s[6:7], v[152:153]
	v_mul_f64 v[150:151], v[24:25], s[36:37]
	v_add_f64 v[18:19], v[18:19], v[134:135]
	v_fma_f64 v[134:135], v[89:90], s[14:15], -v[142:143]
	v_add_f64 v[22:23], v[2:3], v[22:23]
	v_add_f64 v[20:21], v[144:145], v[20:21]
	v_fma_f64 v[144:145], v[73:74], s[24:25], -v[156:157]
	v_mul_f64 v[142:143], v[115:116], s[8:9]
	v_add_f64 v[26:27], v[26:27], v[16:17]
	v_fma_f64 v[16:17], v[121:122], s[20:21], v[138:139]
	v_fma_f64 v[138:139], v[123:124], s[24:25], v[150:151]
	v_mul_f64 v[160:161], v[30:31], s[34:35]
	v_add_f64 v[22:23], v[134:135], v[22:23]
	v_fma_f64 v[134:135], v[81:82], s[12:13], -v[140:141]
	v_fma_f64 v[140:141], v[85:86], s[14:15], v[148:149]
	v_mul_f64 v[148:149], v[125:126], s[36:37]
	v_add_f64 v[20:21], v[144:145], v[20:21]
	v_mul_f64 v[144:145], v[48:49], s[34:35]
	s_mov_b32 s35, 0x3fedeba7
	s_mov_b32 s34, s22
	v_add_f64 v[16:17], v[0:1], v[16:17]
	v_add_f64 v[138:139], v[2:3], v[138:139]
	v_fma_f64 v[162:163], v[89:90], s[6:7], v[142:143]
	v_mul_f64 v[164:165], v[113:114], s[34:35]
	v_fma_f64 v[168:169], v[121:122], s[24:25], -v[148:149]
	v_mul_f64 v[170:171], v[99:100], s[8:9]
	v_add_f64 v[22:23], v[134:135], v[22:23]
	v_fma_f64 v[134:135], v[79:80], s[12:13], v[146:147]
	v_add_f64 v[16:17], v[140:141], v[16:17]
	v_mul_f64 v[146:147], v[111:112], s[26:27]
	v_add_f64 v[138:139], v[162:163], v[138:139]
	v_fma_f64 v[140:141], v[81:82], s[20:21], v[164:165]
	v_add_f64 v[162:163], v[0:1], v[168:169]
	v_fma_f64 v[168:169], v[85:86], s[6:7], -v[170:171]
	v_mul_f64 v[172:173], v[95:96], s[34:35]
	v_mul_f64 v[158:159], v[75:76], s[40:41]
	v_fma_f64 v[154:155], v[77:78], s[24:25], -v[154:155]
	v_add_f64 v[16:17], v[134:135], v[16:17]
	v_fma_f64 v[134:135], v[73:74], s[24:25], v[156:157]
	v_add_f64 v[138:139], v[140:141], v[138:139]
	v_fma_f64 v[140:141], v[77:78], s[12:13], v[146:147]
	v_mul_f64 v[156:157], v[101:102], s[30:31]
	v_add_f64 v[162:163], v[168:169], v[162:163]
	v_fma_f64 v[168:169], v[79:80], s[20:21], -v[172:173]
	v_mul_f64 v[174:175], v[91:92], s[26:27]
	v_fma_f64 v[132:133], v[46:47], s[6:7], -v[158:159]
	v_add_f64 v[22:23], v[154:155], v[22:23]
	v_fma_f64 v[152:153], v[71:72], s[6:7], -v[152:153]
	v_add_f64 v[138:139], v[140:141], v[138:139]
	v_fma_f64 v[140:141], v[71:72], s[18:19], v[156:157]
	v_add_f64 v[16:17], v[134:135], v[16:17]
	v_add_f64 v[154:155], v[168:169], v[162:163]
	v_mul_f64 v[168:169], v[48:49], s[16:17]
	v_fma_f64 v[134:135], v[46:47], s[6:7], v[158:159]
	v_fma_f64 v[158:159], v[73:74], s[12:13], -v[174:175]
	v_mul_f64 v[162:163], v[75:76], s[30:31]
	v_add_f64 v[20:21], v[132:133], v[20:21]
	v_fma_f64 v[132:133], v[44:45], s[18:19], v[144:145]
	v_add_f64 v[152:153], v[152:153], v[22:23]
	v_fma_f64 v[144:145], v[44:45], s[18:19], -v[144:145]
	v_add_f64 v[138:139], v[140:141], v[138:139]
	v_fma_f64 v[176:177], v[44:45], s[14:15], v[168:169]
	v_fma_f64 v[136:137], v[28:29], s[20:21], v[136:137]
	v_fma_f64 v[166:167], v[28:29], s[18:19], -v[160:161]
	v_add_f64 v[134:135], v[134:135], v[16:17]
	v_fma_f64 v[160:161], v[28:29], s[18:19], v[160:161]
	v_add_f64 v[140:141], v[158:159], v[154:155]
	v_fma_f64 v[154:155], v[46:47], s[18:19], -v[162:163]
	v_mul_f64 v[158:159], v[30:31], s[16:17]
	v_add_f64 v[22:23], v[132:133], v[26:27]
	v_add_f64 v[132:133], v[144:145], v[152:153]
	;; [unrolled: 1-line block ×3, first 2 shown]
	v_mul_f64 v[138:139], v[48:49], s[26:27]
	v_mul_f64 v[144:145], v[30:31], s[26:27]
	s_mov_b32 s27, 0xbfddbe06
	v_add_f64 v[16:17], v[136:137], v[130:131]
	v_add_f64 v[130:131], v[160:161], v[134:135]
	;; [unrolled: 1-line block ×3, first 2 shown]
	v_fma_f64 v[136:137], v[28:29], s[14:15], -v[158:159]
	v_mul_f64 v[140:141], v[24:25], s[30:31]
	v_mul_f64 v[152:153], v[24:25], s[26:27]
	;; [unrolled: 1-line block ×4, first 2 shown]
	v_fma_f64 v[148:149], v[121:122], s[24:25], v[148:149]
	v_fma_f64 v[142:143], v[89:90], s[6:7], -v[142:143]
	v_add_f64 v[20:21], v[166:167], v[20:21]
	v_add_f64 v[24:25], v[136:137], v[134:135]
	v_fma_f64 v[134:135], v[123:124], s[24:25], -v[150:151]
	v_fma_f64 v[136:137], v[123:124], s[18:19], v[140:141]
	v_fma_f64 v[140:141], v[123:124], s[18:19], -v[140:141]
	v_fma_f64 v[150:151], v[123:124], s[12:13], v[152:153]
	v_fma_f64 v[160:161], v[121:122], s[18:19], -v[154:155]
	v_fma_f64 v[123:124], v[123:124], s[12:13], -v[152:153]
	v_fma_f64 v[152:153], v[121:122], s[18:19], v[154:155]
	v_fma_f64 v[154:155], v[121:122], s[12:13], -v[125:126]
	v_fma_f64 v[121:122], v[121:122], s[12:13], v[125:126]
	v_add_f64 v[125:126], v[2:3], v[134:135]
	v_add_f64 v[134:135], v[0:1], v[148:149]
	;; [unrolled: 1-line block ×12, first 2 shown]
	v_mul_f64 v[160:161], v[115:116], s[22:23]
	v_fma_f64 v[166:167], v[85:86], s[6:7], v[170:171]
	v_mul_f64 v[176:177], v[113:114], s[8:9]
	v_add_f64 v[125:126], v[142:143], v[125:126]
	v_fma_f64 v[142:143], v[81:82], s[20:21], -v[164:165]
	v_mul_f64 v[164:165], v[99:100], s[22:23]
	v_add_f64 v[2:3], v[2:3], v[109:110]
	v_add_f64 v[0:1], v[0:1], v[107:108]
	v_fma_f64 v[170:171], v[89:90], s[20:21], v[160:161]
	v_add_f64 v[119:120], v[166:167], v[134:135]
	v_fma_f64 v[134:135], v[79:80], s[20:21], v[172:173]
	v_fma_f64 v[166:167], v[81:82], s[6:7], v[176:177]
	v_add_f64 v[125:126], v[142:143], v[125:126]
	v_fma_f64 v[142:143], v[85:86], s[20:21], -v[164:165]
	v_add_f64 v[2:3], v[2:3], v[105:106]
	v_add_f64 v[0:1], v[0:1], v[103:104]
	v_add_f64 v[136:137], v[170:171], v[136:137]
	v_mul_f64 v[170:171], v[111:112], s[38:39]
	v_mul_f64 v[172:173], v[95:96], s[8:9]
	v_fma_f64 v[146:147], v[77:78], s[12:13], -v[146:147]
	v_add_f64 v[119:120], v[134:135], v[119:120]
	v_fma_f64 v[134:135], v[73:74], s[12:13], v[174:175]
	v_add_f64 v[2:3], v[2:3], v[97:98]
	v_add_f64 v[0:1], v[0:1], v[93:94]
	v_mul_f64 v[97:98], v[99:100], s[30:31]
	v_add_f64 v[136:137], v[166:167], v[136:137]
	v_fma_f64 v[166:167], v[77:78], s[14:15], v[170:171]
	v_mul_f64 v[174:175], v[101:102], s[28:29]
	v_add_f64 v[142:143], v[142:143], v[148:149]
	v_fma_f64 v[148:149], v[79:80], s[6:7], -v[172:173]
	v_add_f64 v[2:3], v[2:3], v[87:88]
	v_add_f64 v[0:1], v[0:1], v[83:84]
	v_mul_f64 v[178:179], v[91:92], s[38:39]
	v_add_f64 v[125:126], v[146:147], v[125:126]
	v_fma_f64 v[146:147], v[71:72], s[18:19], -v[156:157]
	v_mul_f64 v[115:116], v[115:116], s[30:31]
	v_fma_f64 v[87:88], v[85:86], s[18:19], -v[97:98]
	v_mul_f64 v[95:96], v[95:96], s[36:37]
	v_add_f64 v[2:3], v[2:3], v[69:70]
	v_add_f64 v[0:1], v[0:1], v[65:66]
	;; [unrolled: 1-line block ×3, first 2 shown]
	v_fma_f64 v[134:135], v[46:47], s[18:19], v[162:163]
	v_add_f64 v[136:137], v[166:167], v[136:137]
	v_fma_f64 v[156:157], v[71:72], s[24:25], v[174:175]
	v_add_f64 v[142:143], v[148:149], v[142:143]
	v_fma_f64 v[148:149], v[73:74], s[14:15], -v[178:179]
	v_fma_f64 v[117:118], v[89:90], s[20:21], -v[160:161]
	v_add_f64 v[125:126], v[146:147], v[125:126]
	v_fma_f64 v[146:147], v[85:86], s[20:21], v[164:165]
	v_add_f64 v[2:3], v[2:3], v[63:64]
	v_add_f64 v[0:1], v[0:1], v[61:62]
	v_fma_f64 v[109:110], v[89:90], s[18:19], v[115:116]
	v_mul_f64 v[113:114], v[113:114], s[36:37]
	v_fma_f64 v[65:66], v[89:90], s[18:19], -v[115:116]
	v_add_f64 v[69:70], v[87:88], v[154:155]
	v_fma_f64 v[87:88], v[79:80], s[24:25], -v[95:96]
	v_mul_f64 v[89:90], v[91:92], s[22:23]
	v_fma_f64 v[85:86], v[85:86], s[18:19], v[97:98]
	v_mul_f64 v[162:163], v[75:76], s[28:29]
	v_add_f64 v[119:120], v[134:135], v[119:120]
	v_add_f64 v[134:135], v[156:157], v[136:137]
	;; [unrolled: 1-line block ×4, first 2 shown]
	v_fma_f64 v[140:141], v[81:82], s[6:7], -v[176:177]
	v_add_f64 v[146:147], v[146:147], v[152:153]
	v_fma_f64 v[148:149], v[79:80], s[6:7], v[172:173]
	v_add_f64 v[2:3], v[2:3], v[67:68]
	v_add_f64 v[0:1], v[0:1], v[50:51]
	;; [unrolled: 1-line block ×3, first 2 shown]
	v_fma_f64 v[109:110], v[81:82], s[24:25], v[113:114]
	v_mul_f64 v[111:112], v[111:112], s[22:23]
	v_fma_f64 v[61:62], v[81:82], s[24:25], -v[113:114]
	v_add_f64 v[63:64], v[65:66], v[123:124]
	v_add_f64 v[65:66], v[87:88], v[69:70]
	v_fma_f64 v[69:70], v[73:74], s[20:21], -v[89:90]
	v_fma_f64 v[79:80], v[79:80], s[24:25], v[95:96]
	v_add_f64 v[81:82], v[85:86], v[121:122]
	v_fma_f64 v[142:143], v[46:47], s[24:25], -v[162:163]
	v_add_f64 v[117:118], v[140:141], v[117:118]
	v_add_f64 v[140:141], v[148:149], v[146:147]
	v_fma_f64 v[103:104], v[73:74], s[14:15], v[178:179]
	v_add_f64 v[2:3], v[2:3], v[59:60]
	v_add_f64 v[0:1], v[0:1], v[57:58]
	v_mul_f64 v[101:102], v[101:102], s[16:17]
	v_fma_f64 v[50:51], v[77:78], s[20:21], -v[111:112]
	v_add_f64 v[61:62], v[61:62], v[63:64]
	v_mul_f64 v[63:64], v[75:76], s[16:17]
	v_add_f64 v[65:66], v[69:70], v[65:66]
	v_fma_f64 v[67:68], v[73:74], s[20:21], v[89:90]
	v_add_f64 v[69:70], v[79:80], v[81:82]
	v_add_f64 v[107:108], v[142:143], v[136:137]
	v_fma_f64 v[136:137], v[77:78], s[14:15], -v[170:171]
	v_add_f64 v[93:94], v[103:104], v[140:141]
	v_add_f64 v[99:100], v[109:110], v[105:106]
	v_fma_f64 v[103:104], v[77:78], s[20:21], v[111:112]
	v_add_f64 v[2:3], v[2:3], v[42:43]
	v_add_f64 v[0:1], v[0:1], v[40:41]
	v_fma_f64 v[105:106], v[46:47], s[24:25], v[162:163]
	v_fma_f64 v[57:58], v[71:72], s[14:15], -v[101:102]
	v_add_f64 v[50:51], v[50:51], v[61:62]
	v_fma_f64 v[59:60], v[46:47], s[14:15], -v[63:64]
	v_mul_f64 v[48:49], v[48:49], s[8:9]
	v_fma_f64 v[46:47], v[46:47], s[14:15], v[63:64]
	v_add_f64 v[61:62], v[67:68], v[69:70]
	v_mul_f64 v[30:31], v[30:31], s[8:9]
	v_add_f64 v[117:118], v[136:137], v[117:118]
	v_fma_f64 v[136:137], v[71:72], s[24:25], -v[174:175]
	v_add_f64 v[99:100], v[103:104], v[99:100]
	v_fma_f64 v[103:104], v[71:72], s[14:15], v[101:102]
	v_fma_f64 v[40:41], v[44:45], s[14:15], -v[168:169]
	v_add_f64 v[38:39], v[2:3], v[38:39]
	v_add_f64 v[0:1], v[0:1], v[36:37]
	v_fma_f64 v[42:43], v[44:45], s[12:13], v[138:139]
	v_fma_f64 v[63:64], v[44:45], s[12:13], -v[138:139]
	v_fma_f64 v[67:68], v[44:45], s[6:7], v[48:49]
	v_fma_f64 v[44:45], v[44:45], s[6:7], -v[48:49]
	v_add_f64 v[48:49], v[57:58], v[50:51]
	v_add_f64 v[46:47], v[46:47], v[61:62]
	v_fma_f64 v[69:70], v[28:29], s[6:7], v[30:31]
	v_add_f64 v[83:84], v[136:137], v[117:118]
	v_add_f64 v[93:94], v[105:106], v[93:94]
	v_fma_f64 v[61:62], v[28:29], s[12:13], v[144:145]
	v_fma_f64 v[50:51], v[28:29], s[14:15], v[158:159]
	v_add_f64 v[91:92], v[103:104], v[99:100]
	v_fma_f64 v[57:58], v[28:29], s[12:13], -v[144:145]
	v_fma_f64 v[71:72], v[28:29], s[6:7], -v[30:31]
	v_add_f64 v[59:60], v[59:60], v[65:66]
	v_add_f64 v[2:3], v[40:41], v[125:126]
	;; [unrolled: 1-line block ×13, first 2 shown]
	ds_write_b128 v128, v[38:41]
	ds_write_b128 v129, v[34:37] offset:800
	ds_write_b128 v129, v[28:31] offset:1600
	;; [unrolled: 1-line block ×12, first 2 shown]
.LBB0_22:
	s_or_b64 exec, exec, s[4:5]
	s_waitcnt lgkmcnt(0)
	s_barrier
	s_and_saveexec_b64 s[4:5], s[0:1]
	s_cbranch_execz .LBB0_24
; %bb.23:
	v_mul_lo_u32 v0, s3, v54
	v_mul_lo_u32 v1, s2, v55
	v_mad_u64_u32 v[4:5], s[0:1], s2, v54, 0
	v_mov_b32_e32 v6, s11
	v_lshl_add_u32 v10, v56, 4, v127
	v_add3_u32 v5, v5, v1, v0
	v_lshlrev_b64 v[4:5], 4, v[4:5]
	v_mov_b32_e32 v57, 0
	v_add_co_u32_e32 v7, vcc, s10, v4
	v_addc_co_u32_e32 v6, vcc, v6, v5, vcc
	v_lshlrev_b64 v[4:5], 4, v[52:53]
	ds_read_b128 v[0:3], v10
	v_add_co_u32_e32 v11, vcc, v7, v4
	v_addc_co_u32_e32 v12, vcc, v6, v5, vcc
	v_lshlrev_b64 v[4:5], 4, v[56:57]
	v_add_co_u32_e32 v8, vcc, v11, v4
	v_addc_co_u32_e32 v9, vcc, v12, v5, vcc
	ds_read_b128 v[4:7], v10 offset:1040
	s_waitcnt lgkmcnt(1)
	global_store_dwordx4 v[8:9], v[0:3], off
	s_nop 0
	v_add_u32_e32 v0, 0x41, v56
	v_mov_b32_e32 v1, v57
	v_lshlrev_b64 v[0:1], 4, v[0:1]
	v_add_co_u32_e32 v0, vcc, v11, v0
	v_addc_co_u32_e32 v1, vcc, v12, v1, vcc
	s_waitcnt lgkmcnt(0)
	global_store_dwordx4 v[0:1], v[4:7], off
	ds_read_b128 v[0:3], v10 offset:2080
	v_add_u32_e32 v4, 0x82, v56
	v_mov_b32_e32 v5, v57
	v_lshlrev_b64 v[4:5], 4, v[4:5]
	v_add_co_u32_e32 v8, vcc, v11, v4
	v_addc_co_u32_e32 v9, vcc, v12, v5, vcc
	ds_read_b128 v[4:7], v10 offset:3120
	s_waitcnt lgkmcnt(1)
	global_store_dwordx4 v[8:9], v[0:3], off
	s_nop 0
	v_add_u32_e32 v0, 0xc3, v56
	v_mov_b32_e32 v1, v57
	v_lshlrev_b64 v[0:1], 4, v[0:1]
	v_add_co_u32_e32 v0, vcc, v11, v0
	v_addc_co_u32_e32 v1, vcc, v12, v1, vcc
	s_waitcnt lgkmcnt(0)
	global_store_dwordx4 v[0:1], v[4:7], off
	ds_read_b128 v[0:3], v10 offset:4160
	v_add_u32_e32 v4, 0x104, v56
	v_mov_b32_e32 v5, v57
	;; [unrolled: 17-line block ×4, first 2 shown]
	v_lshlrev_b64 v[4:5], 4, v[4:5]
	v_add_u32_e32 v56, 0x249, v56
	v_add_co_u32_e32 v8, vcc, v11, v4
	v_addc_co_u32_e32 v9, vcc, v12, v5, vcc
	ds_read_b128 v[4:7], v10 offset:9360
	s_waitcnt lgkmcnt(1)
	global_store_dwordx4 v[8:9], v[0:3], off
	s_nop 0
	v_lshlrev_b64 v[0:1], 4, v[56:57]
	v_add_co_u32_e32 v0, vcc, v11, v0
	v_addc_co_u32_e32 v1, vcc, v12, v1, vcc
	s_waitcnt lgkmcnt(0)
	global_store_dwordx4 v[0:1], v[4:7], off
.LBB0_24:
	s_endpgm
	.section	.rodata,"a",@progbits
	.p2align	6, 0x0
	.amdhsa_kernel fft_rtc_back_len650_factors_10_5_13_wgs_195_tpt_65_dp_op_CI_CI_unitstride_sbrr_C2R_dirReg
		.amdhsa_group_segment_fixed_size 0
		.amdhsa_private_segment_fixed_size 0
		.amdhsa_kernarg_size 104
		.amdhsa_user_sgpr_count 6
		.amdhsa_user_sgpr_private_segment_buffer 1
		.amdhsa_user_sgpr_dispatch_ptr 0
		.amdhsa_user_sgpr_queue_ptr 0
		.amdhsa_user_sgpr_kernarg_segment_ptr 1
		.amdhsa_user_sgpr_dispatch_id 0
		.amdhsa_user_sgpr_flat_scratch_init 0
		.amdhsa_user_sgpr_private_segment_size 0
		.amdhsa_uses_dynamic_stack 0
		.amdhsa_system_sgpr_private_segment_wavefront_offset 0
		.amdhsa_system_sgpr_workgroup_id_x 1
		.amdhsa_system_sgpr_workgroup_id_y 0
		.amdhsa_system_sgpr_workgroup_id_z 0
		.amdhsa_system_sgpr_workgroup_info 0
		.amdhsa_system_vgpr_workitem_id 0
		.amdhsa_next_free_vgpr 180
		.amdhsa_next_free_sgpr 42
		.amdhsa_reserve_vcc 1
		.amdhsa_reserve_flat_scratch 0
		.amdhsa_float_round_mode_32 0
		.amdhsa_float_round_mode_16_64 0
		.amdhsa_float_denorm_mode_32 3
		.amdhsa_float_denorm_mode_16_64 3
		.amdhsa_dx10_clamp 1
		.amdhsa_ieee_mode 1
		.amdhsa_fp16_overflow 0
		.amdhsa_exception_fp_ieee_invalid_op 0
		.amdhsa_exception_fp_denorm_src 0
		.amdhsa_exception_fp_ieee_div_zero 0
		.amdhsa_exception_fp_ieee_overflow 0
		.amdhsa_exception_fp_ieee_underflow 0
		.amdhsa_exception_fp_ieee_inexact 0
		.amdhsa_exception_int_div_zero 0
	.end_amdhsa_kernel
	.text
.Lfunc_end0:
	.size	fft_rtc_back_len650_factors_10_5_13_wgs_195_tpt_65_dp_op_CI_CI_unitstride_sbrr_C2R_dirReg, .Lfunc_end0-fft_rtc_back_len650_factors_10_5_13_wgs_195_tpt_65_dp_op_CI_CI_unitstride_sbrr_C2R_dirReg
                                        ; -- End function
	.section	.AMDGPU.csdata,"",@progbits
; Kernel info:
; codeLenInByte = 10540
; NumSgprs: 46
; NumVgprs: 180
; ScratchSize: 0
; MemoryBound: 0
; FloatMode: 240
; IeeeMode: 1
; LDSByteSize: 0 bytes/workgroup (compile time only)
; SGPRBlocks: 5
; VGPRBlocks: 44
; NumSGPRsForWavesPerEU: 46
; NumVGPRsForWavesPerEU: 180
; Occupancy: 1
; WaveLimiterHint : 1
; COMPUTE_PGM_RSRC2:SCRATCH_EN: 0
; COMPUTE_PGM_RSRC2:USER_SGPR: 6
; COMPUTE_PGM_RSRC2:TRAP_HANDLER: 0
; COMPUTE_PGM_RSRC2:TGID_X_EN: 1
; COMPUTE_PGM_RSRC2:TGID_Y_EN: 0
; COMPUTE_PGM_RSRC2:TGID_Z_EN: 0
; COMPUTE_PGM_RSRC2:TIDIG_COMP_CNT: 0
	.type	__hip_cuid_45eeb08f545b7c93,@object ; @__hip_cuid_45eeb08f545b7c93
	.section	.bss,"aw",@nobits
	.globl	__hip_cuid_45eeb08f545b7c93
__hip_cuid_45eeb08f545b7c93:
	.byte	0                               ; 0x0
	.size	__hip_cuid_45eeb08f545b7c93, 1

	.ident	"AMD clang version 19.0.0git (https://github.com/RadeonOpenCompute/llvm-project roc-6.4.0 25133 c7fe45cf4b819c5991fe208aaa96edf142730f1d)"
	.section	".note.GNU-stack","",@progbits
	.addrsig
	.addrsig_sym __hip_cuid_45eeb08f545b7c93
	.amdgpu_metadata
---
amdhsa.kernels:
  - .args:
      - .actual_access:  read_only
        .address_space:  global
        .offset:         0
        .size:           8
        .value_kind:     global_buffer
      - .offset:         8
        .size:           8
        .value_kind:     by_value
      - .actual_access:  read_only
        .address_space:  global
        .offset:         16
        .size:           8
        .value_kind:     global_buffer
      - .actual_access:  read_only
        .address_space:  global
        .offset:         24
        .size:           8
        .value_kind:     global_buffer
      - .actual_access:  read_only
        .address_space:  global
        .offset:         32
        .size:           8
        .value_kind:     global_buffer
      - .offset:         40
        .size:           8
        .value_kind:     by_value
      - .actual_access:  read_only
        .address_space:  global
        .offset:         48
        .size:           8
        .value_kind:     global_buffer
      - .actual_access:  read_only
        .address_space:  global
        .offset:         56
        .size:           8
        .value_kind:     global_buffer
      - .offset:         64
        .size:           4
        .value_kind:     by_value
      - .actual_access:  read_only
        .address_space:  global
        .offset:         72
        .size:           8
        .value_kind:     global_buffer
      - .actual_access:  read_only
        .address_space:  global
        .offset:         80
        .size:           8
        .value_kind:     global_buffer
      - .actual_access:  read_only
        .address_space:  global
        .offset:         88
        .size:           8
        .value_kind:     global_buffer
      - .actual_access:  write_only
        .address_space:  global
        .offset:         96
        .size:           8
        .value_kind:     global_buffer
    .group_segment_fixed_size: 0
    .kernarg_segment_align: 8
    .kernarg_segment_size: 104
    .language:       OpenCL C
    .language_version:
      - 2
      - 0
    .max_flat_workgroup_size: 195
    .name:           fft_rtc_back_len650_factors_10_5_13_wgs_195_tpt_65_dp_op_CI_CI_unitstride_sbrr_C2R_dirReg
    .private_segment_fixed_size: 0
    .sgpr_count:     46
    .sgpr_spill_count: 0
    .symbol:         fft_rtc_back_len650_factors_10_5_13_wgs_195_tpt_65_dp_op_CI_CI_unitstride_sbrr_C2R_dirReg.kd
    .uniform_work_group_size: 1
    .uses_dynamic_stack: false
    .vgpr_count:     180
    .vgpr_spill_count: 0
    .wavefront_size: 64
amdhsa.target:   amdgcn-amd-amdhsa--gfx906
amdhsa.version:
  - 1
  - 2
...

	.end_amdgpu_metadata
